;; amdgpu-corpus repo=llvm/llvm-project kind=harvested arch=n/a opt=n/a
// NOTE: Assertions have been autogenerated by utils/update_mc_test_checks.py UTC_ARGS: --version 6
// RUN: llvm-mc -triple=amdgcn -mcpu=gfx1310 -show-encoding %s | FileCheck -check-prefixes=GFX13,GFX13-ASM %s
// RUN: llvm-mc -triple=amdgcn -mcpu=gfx1310 -show-encoding %s | %extract-encodings | llvm-mc -triple=amdgcn -mcpu=gfx1310 -disassemble -show-encoding | FileCheck -check-prefixes=GFX13,GFX13-DIS %s

s_movk_i32 s0, 0
// GFX13: s_movk_i32 s0, 0x0                      ; encoding: [0x00,0x00,0x00,0xb0]

s_movk_i32 s105, 0
// GFX13: s_movk_i32 s105, 0x0                    ; encoding: [0x00,0x00,0x69,0xb0]

s_movk_i32 vcc_lo, 0
// GFX13: s_movk_i32 vcc_lo, 0x0                  ; encoding: [0x00,0x00,0x6a,0xb0]

s_movk_i32 exec_lo, 0
// GFX13: s_movk_i32 exec_lo, 0x0                 ; encoding: [0x00,0x00,0x7e,0xb0]

s_movk_i32 m0, 0
// GFX13: s_movk_i32 m0, 0x0                      ; encoding: [0x00,0x00,0x7d,0xb0]

s_movk_i32 null, 0
// GFX13: s_movk_i32 null, 0x0                    ; encoding: [0x00,0x00,0x7c,0xb0]

s_movk_i32 s0, 0x1234
// GFX13: s_movk_i32 s0, 0x1234                   ; encoding: [0x34,0x12,0x00,0xb0]

s_version 0
// GFX13-ASM: s_version 0x0                           ; encoding: [0x00,0x00,0x80,0xb0]
// GFX13-DIS: s_version UC_VERSION_GFX7               ; encoding: [0x00,0x00,0x80,0xb0]

s_version 0x1234
// GFX13: s_version 0x1234                        ; encoding: [0x34,0x12,0x80,0xb0]

s_cmovk_i32 s0, 0
// GFX13: s_cmovk_i32 s0, 0x0                     ; encoding: [0x00,0x00,0x00,0xb1]

s_cmovk_i32 s105, 0
// GFX13: s_cmovk_i32 s105, 0x0                   ; encoding: [0x00,0x00,0x69,0xb1]

s_cmovk_i32 vcc_lo, 0
// GFX13: s_cmovk_i32 vcc_lo, 0x0                 ; encoding: [0x00,0x00,0x6a,0xb1]

s_cmovk_i32 exec_lo, 0
// GFX13: s_cmovk_i32 exec_lo, 0x0                ; encoding: [0x00,0x00,0x7e,0xb1]

s_cmovk_i32 m0, 0
// GFX13: s_cmovk_i32 m0, 0x0                     ; encoding: [0x00,0x00,0x7d,0xb1]

s_cmovk_i32 null, 0
// GFX13: s_cmovk_i32 null, 0x0                   ; encoding: [0x00,0x00,0x7c,0xb1]

s_cmovk_i32 s0, 0x1234
// GFX13: s_cmovk_i32 s0, 0x1234                  ; encoding: [0x34,0x12,0x00,0xb1]

s_addk_co_i32 s0, 0
// GFX13: s_addk_co_i32 s0, 0x0                   ; encoding: [0x00,0x00,0x80,0xb7]

s_addk_co_i32 s105, 0
// GFX13: s_addk_co_i32 s105, 0x0                 ; encoding: [0x00,0x00,0xe9,0xb7]

s_addk_co_i32 vcc_lo, 0
// GFX13: s_addk_co_i32 vcc_lo, 0x0               ; encoding: [0x00,0x00,0xea,0xb7]

s_addk_co_i32 exec_lo, 0
// GFX13: s_addk_co_i32 exec_lo, 0x0              ; encoding: [0x00,0x00,0xfe,0xb7]

s_addk_co_i32 m0, 0
// GFX13: s_addk_co_i32 m0, 0x0                   ; encoding: [0x00,0x00,0xfd,0xb7]

s_addk_co_i32 null, 0
// GFX13: s_addk_co_i32 null, 0x0                 ; encoding: [0x00,0x00,0xfc,0xb7]

s_addk_co_i32 s0, 0x1234
// GFX13: s_addk_co_i32 s0, 0x1234                ; encoding: [0x34,0x12,0x80,0xb7]

s_mulk_i32 s0, 0
// GFX13: s_mulk_i32 s0, 0x0                      ; encoding: [0x00,0x00,0x00,0xb8]

s_mulk_i32 s105, 0
// GFX13: s_mulk_i32 s105, 0x0                    ; encoding: [0x00,0x00,0x69,0xb8]

s_mulk_i32 vcc_lo, 0
// GFX13: s_mulk_i32 vcc_lo, 0x0                  ; encoding: [0x00,0x00,0x6a,0xb8]

s_mulk_i32 exec_lo, 0
// GFX13: s_mulk_i32 exec_lo, 0x0                 ; encoding: [0x00,0x00,0x7e,0xb8]

s_mulk_i32 m0, 0
// GFX13: s_mulk_i32 m0, 0x0                      ; encoding: [0x00,0x00,0x7d,0xb8]

s_mulk_i32 null, 0
// GFX13: s_mulk_i32 null, 0x0                    ; encoding: [0x00,0x00,0x7c,0xb8]

s_mulk_i32 s0, 0x1234
// GFX13: s_mulk_i32 s0, 0x1234                   ; encoding: [0x34,0x12,0x00,0xb8]

s_getreg_b32 s0, 0
// GFX13: s_getreg_b32 s0, hwreg(0, 0, 1)         ; encoding: [0x00,0x00,0x00,0xb9]

s_getreg_b32 s105, 0
// GFX13: s_getreg_b32 s105, hwreg(0, 0, 1)       ; encoding: [0x00,0x00,0x69,0xb9]

s_getreg_b32 vcc_lo, 0
// GFX13: s_getreg_b32 vcc_lo, hwreg(0, 0, 1)     ; encoding: [0x00,0x00,0x6a,0xb9]

s_getreg_b32 exec_lo, 0
// GFX13: s_getreg_b32 exec_lo, hwreg(0, 0, 1)    ; encoding: [0x00,0x00,0x7e,0xb9]

s_getreg_b32 m0, 0
// GFX13: s_getreg_b32 m0, hwreg(0, 0, 1)         ; encoding: [0x00,0x00,0x7d,0xb9]

s_getreg_b32 null, 0
// GFX13: s_getreg_b32 null, hwreg(0, 0, 1)       ; encoding: [0x00,0x00,0x7c,0xb9]

s_getreg_b32 s0, 0x1234
// GFX13: s_getreg_b32 s0, hwreg(52, 8, 3)        ; encoding: [0x34,0x12,0x00,0xb9]

s_getreg_b32 s0, hwreg(HW_REG_MODE)
// GFX13: s_getreg_b32 s0, hwreg(HW_REG_WAVE_MODE) ; encoding: [0x01,0xf8,0x00,0xb9]

s_getreg_b32 s0, hwreg(HW_REG_STATUS)
// GFX13: s_getreg_b32 s0, hwreg(HW_REG_WAVE_STATUS) ; encoding: [0x02,0xf8,0x00,0xb9]

s_getreg_b32 s0, hwreg(HW_REG_STATE_PRIV)
// GFX13: s_getreg_b32 s0, hwreg(HW_REG_WAVE_STATE_PRIV) ; encoding: [0x04,0xf8,0x00,0xb9]

s_getreg_b32 s0, hwreg(HW_REG_GPR_ALLOC)
// GFX13: s_getreg_b32 s0, hwreg(HW_REG_WAVE_GPR_ALLOC) ; encoding: [0x05,0xf8,0x00,0xb9]

s_getreg_b32 s0, hwreg(HW_REG_LDS_ALLOC)
// GFX13: s_getreg_b32 s0, hwreg(HW_REG_WAVE_LDS_ALLOC) ; encoding: [0x06,0xf8,0x00,0xb9]

s_getreg_b32 s0, hwreg(HW_REG_PERF_SNAPSHOT_DATA)
// GFX13: s_getreg_b32 s0, hwreg(HW_REG_PERF_SNAPSHOT_DATA) ; encoding: [0x0a,0xf8,0x00,0xb9]

s_getreg_b32 s0, hwreg(HW_REG_PERF_SNAPSHOT_PC_LO)
// GFX13: s_getreg_b32 s0, hwreg(HW_REG_PERF_SNAPSHOT_PC_LO) ; encoding: [0x0b,0xf8,0x00,0xb9]

s_getreg_b32 s0, hwreg(HW_REG_PERF_SNAPSHOT_PC_HI)
// GFX13: s_getreg_b32 s0, hwreg(HW_REG_PERF_SNAPSHOT_PC_HI) ; encoding: [0x0c,0xf8,0x00,0xb9]

s_getreg_b32 s0, hwreg(HW_REG_PERF_SNAPSHOT_DATA1)
// GFX13: s_getreg_b32 s0, hwreg(HW_REG_PERF_SNAPSHOT_DATA1) ; encoding: [0x0f,0xf8,0x00,0xb9]

s_getreg_b32 s0, hwreg(HW_REG_PERF_SNAPSHOT_DATA2)
// GFX13: s_getreg_b32 s0, hwreg(HW_REG_PERF_SNAPSHOT_DATA2) ; encoding: [0x10,0xf8,0x00,0xb9]

s_getreg_b32 s0, hwreg(HW_REG_EXCP_FLAG_PRIV)
// GFX13: s_getreg_b32 s0, hwreg(HW_REG_WAVE_EXCP_FLAG_PRIV) ; encoding: [0x11,0xf8,0x00,0xb9]

s_getreg_b32 s0, hwreg(HW_REG_EXCP_FLAG_USER)
// GFX13: s_getreg_b32 s0, hwreg(HW_REG_WAVE_EXCP_FLAG_USER) ; encoding: [0x12,0xf8,0x00,0xb9]

s_getreg_b32 s0, hwreg(HW_REG_TRAP_CTRL)
// GFX13: s_getreg_b32 s0, hwreg(HW_REG_WAVE_TRAP_CTRL) ; encoding: [0x13,0xf8,0x00,0xb9]

s_getreg_b32 s0, hwreg(HW_REG_SCRATCH_BASE_LO)
// GFX13: s_getreg_b32 s0, hwreg(HW_REG_WAVE_SCRATCH_BASE_LO) ; encoding: [0x14,0xf8,0x00,0xb9]

s_getreg_b32 s0, hwreg(HW_REG_SCRATCH_BASE_HI)
// GFX13: s_getreg_b32 s0, hwreg(HW_REG_WAVE_SCRATCH_BASE_HI) ; encoding: [0x15,0xf8,0x00,0xb9]

s_getreg_b32 s0, hwreg(HW_REG_HW_ID1)
// GFX13: s_getreg_b32 s0, hwreg(HW_REG_WAVE_HW_ID1) ; encoding: [0x17,0xf8,0x00,0xb9]

s_getreg_b32 s0, hwreg(HW_REG_HW_ID2)
// GFX13: s_getreg_b32 s0, hwreg(HW_REG_WAVE_HW_ID2) ; encoding: [0x18,0xf8,0x00,0xb9]

s_setreg_b32 0, s0
// GFX13: s_setreg_b32 hwreg(0, 0, 1), s0         ; encoding: [0x00,0x00,0x80,0xb9]

s_setreg_b32 0x1234, s0
// GFX13: s_setreg_b32 hwreg(52, 8, 3), s0        ; encoding: [0x34,0x12,0x80,0xb9]

s_setreg_b32 0, s105
// GFX13: s_setreg_b32 hwreg(0, 0, 1), s105       ; encoding: [0x00,0x00,0xe9,0xb9]

s_setreg_b32 0, vcc_lo
// GFX13: s_setreg_b32 hwreg(0, 0, 1), vcc_lo     ; encoding: [0x00,0x00,0xea,0xb9]

s_setreg_b32 0, exec_lo
// GFX13: s_setreg_b32 hwreg(0, 0, 1), exec_lo    ; encoding: [0x00,0x00,0xfe,0xb9]

s_setreg_b32 0, m0
// GFX13: s_setreg_b32 hwreg(0, 0, 1), m0         ; encoding: [0x00,0x00,0xfd,0xb9]

s_setreg_b32 0, null
// GFX13: s_setreg_b32 hwreg(0, 0, 1), null       ; encoding: [0x00,0x00,0xfc,0xb9]

s_setreg_imm32_b32 0, 0
// GFX13: s_setreg_imm32_b32 hwreg(0, 0, 1), 0    ; encoding: [0x00,0x00,0x80,0xba,0x00,0x00,0x00,0x00]

s_setreg_imm32_b32 0x1234, 0
// GFX13: s_setreg_imm32_b32 hwreg(52, 8, 3), 0   ; encoding: [0x34,0x12,0x80,0xba,0x00,0x00,0x00,0x00]

s_setreg_imm32_b32 0, 0x12345678
// GFX13: s_setreg_imm32_b32 hwreg(0, 0, 1), 0x12345678 ; encoding: [0x00,0x00,0x80,0xba,0x78,0x56,0x34,0x12]

s_call_i64 s[0:1], 0
// GFX13: s_call_i64 s[0:1], 0                    ; encoding: [0x00,0x00,0x00,0xbb]

s_call_i64 s[104:105], 0
// GFX13: s_call_i64 s[104:105], 0                ; encoding: [0x00,0x00,0x68,0xbb]

s_call_i64 vcc, 0
// GFX13: s_call_i64 vcc, 0                       ; encoding: [0x00,0x00,0x6a,0xbb]

s_call_i64 exec, 0
// GFX13: s_call_i64 exec, 0                      ; encoding: [0x00,0x00,0x7e,0xbb]

s_call_i64 null, 0
// GFX13: s_call_i64 null, 0                      ; encoding: [0x00,0x00,0x7c,0xbb]

s_call_i64 s[0:1], 0x1234
// GFX13: s_call_i64 s[0:1], 4660                 ; encoding: [0x34,0x12,0x00,0xbb]

